;; amdgpu-corpus repo=ROCm/rocFFT kind=compiled arch=gfx906 opt=O3
	.text
	.amdgcn_target "amdgcn-amd-amdhsa--gfx906"
	.amdhsa_code_object_version 6
	.protected	fft_rtc_fwd_len240_factors_8_5_6_wgs_384_tpt_48_dp_ip_CI_sbcc_dirReg_intrinsicReadWrite ; -- Begin function fft_rtc_fwd_len240_factors_8_5_6_wgs_384_tpt_48_dp_ip_CI_sbcc_dirReg_intrinsicReadWrite
	.globl	fft_rtc_fwd_len240_factors_8_5_6_wgs_384_tpt_48_dp_ip_CI_sbcc_dirReg_intrinsicReadWrite
	.p2align	8
	.type	fft_rtc_fwd_len240_factors_8_5_6_wgs_384_tpt_48_dp_ip_CI_sbcc_dirReg_intrinsicReadWrite,@function
fft_rtc_fwd_len240_factors_8_5_6_wgs_384_tpt_48_dp_ip_CI_sbcc_dirReg_intrinsicReadWrite: ; @fft_rtc_fwd_len240_factors_8_5_6_wgs_384_tpt_48_dp_ip_CI_sbcc_dirReg_intrinsicReadWrite
; %bb.0:
	s_load_dwordx4 s[0:3], s[4:5], 0x18
	s_mov_b32 s7, 0
	s_mov_b64 s[22:23], 0
	s_waitcnt lgkmcnt(0)
	s_load_dwordx2 s[10:11], s[0:1], 0x8
	s_waitcnt lgkmcnt(0)
	s_add_u32 s8, s10, -1
	s_addc_u32 s9, s11, -1
	s_lshr_b64 s[8:9], s[8:9], 3
	s_add_u32 s18, s8, 1
	s_addc_u32 s19, s9, 0
	v_mov_b32_e32 v1, s18
	v_mov_b32_e32 v2, s19
	v_cmp_lt_u64_e32 vcc, s[6:7], v[1:2]
	s_cbranch_vccnz .LBB0_2
; %bb.1:
	v_cvt_f32_u32_e32 v1, s18
	s_sub_i32 s8, 0, s18
	s_mov_b32 s23, s7
	v_rcp_iflag_f32_e32 v1, v1
	v_mul_f32_e32 v1, 0x4f7ffffe, v1
	v_cvt_u32_f32_e32 v1, v1
	v_readfirstlane_b32 s9, v1
	s_mul_i32 s8, s8, s9
	s_mul_hi_u32 s8, s9, s8
	s_add_i32 s9, s9, s8
	s_mul_hi_u32 s8, s6, s9
	s_mul_i32 s12, s8, s18
	s_sub_i32 s12, s6, s12
	s_add_i32 s9, s8, 1
	s_sub_i32 s13, s12, s18
	s_cmp_ge_u32 s12, s18
	s_cselect_b32 s8, s9, s8
	s_cselect_b32 s12, s13, s12
	s_add_i32 s9, s8, 1
	s_cmp_ge_u32 s12, s18
	s_cselect_b32 s22, s9, s8
.LBB0_2:
	s_load_dwordx2 s[16:17], s[4:5], 0x0
	s_load_dwordx4 s[12:15], s[2:3], 0x0
	s_mul_i32 s8, s22, s19
	s_mul_hi_u32 s9, s22, s18
	s_add_i32 s9, s9, s8
	s_mul_i32 s8, s22, s18
	s_sub_u32 s24, s6, s8
	s_subb_u32 s25, 0, s9
	v_mov_b32_e32 v1, s24
	v_alignbit_b32 v1, s25, v1, 29
	s_load_dwordx2 s[8:9], s[4:5], 0x58
	s_load_dwordx2 s[20:21], s[4:5], 0x10
	s_waitcnt lgkmcnt(0)
	v_mul_lo_u32 v1, s14, v1
	s_lshl_b64 s[4:5], s[24:25], 3
	s_mul_hi_u32 s13, s14, s4
	v_add_u32_e32 v1, s13, v1
	s_mul_i32 s13, s15, s4
	v_cmp_lt_u64_e64 s[24:25], s[20:21], 3
	v_add_u32_e32 v4, s13, v1
	s_mul_i32 s13, s14, s4
	v_mov_b32_e32 v3, s13
	s_and_b64 vcc, exec, s[24:25]
	s_cbranch_vccnz .LBB0_9
; %bb.3:
	s_add_u32 s24, s2, 16
	s_addc_u32 s25, s3, 0
	s_add_u32 s26, s0, 16
	v_mov_b32_e32 v1, s20
	s_addc_u32 s27, s1, 0
	s_mov_b64 s[28:29], 2
	s_mov_b32 s30, 0
	v_mov_b32_e32 v2, s21
	s_branch .LBB0_5
.LBB0_4:                                ;   in Loop: Header=BB0_5 Depth=1
	s_mul_i32 s13, s34, s19
	s_mul_hi_u32 s15, s34, s18
	s_add_i32 s13, s15, s13
	s_mul_i32 s15, s35, s18
	s_add_i32 s19, s13, s15
	s_mul_i32 s13, s0, s35
	s_mul_hi_u32 s15, s0, s34
	s_load_dwordx2 s[36:37], s[24:25], 0x0
	s_add_i32 s13, s15, s13
	s_mul_i32 s15, s1, s34
	s_add_i32 s13, s13, s15
	s_mul_i32 s15, s0, s34
	s_sub_u32 s15, s22, s15
	s_subb_u32 s13, s23, s13
	s_waitcnt lgkmcnt(0)
	s_mul_i32 s13, s36, s13
	s_mul_hi_u32 s22, s36, s15
	s_add_i32 s13, s22, s13
	s_mul_i32 s22, s37, s15
	s_add_i32 s13, s13, s22
	s_mul_i32 s15, s36, s15
	s_add_u32 s28, s28, 1
	v_mov_b32_e32 v5, s13
	v_add_co_u32_e32 v3, vcc, s15, v3
	s_addc_u32 s29, s29, 0
	v_addc_co_u32_e32 v4, vcc, v5, v4, vcc
	s_add_u32 s24, s24, 8
	s_addc_u32 s25, s25, 0
	v_cmp_ge_u64_e32 vcc, s[28:29], v[1:2]
	s_add_u32 s26, s26, 8
	s_mul_i32 s18, s34, s18
	s_addc_u32 s27, s27, 0
	s_mov_b64 s[22:23], s[0:1]
	s_cbranch_vccnz .LBB0_10
.LBB0_5:                                ; =>This Inner Loop Header: Depth=1
	s_load_dwordx2 s[34:35], s[26:27], 0x0
	s_waitcnt lgkmcnt(0)
	s_or_b64 s[0:1], s[22:23], s[34:35]
	s_mov_b32 s31, s1
	s_cmp_lg_u64 s[30:31], 0
	s_cbranch_scc0 .LBB0_7
; %bb.6:                                ;   in Loop: Header=BB0_5 Depth=1
	v_cvt_f32_u32_e32 v5, s34
	v_cvt_f32_u32_e32 v6, s35
	s_sub_u32 s0, 0, s34
	s_subb_u32 s1, 0, s35
	v_mac_f32_e32 v5, 0x4f800000, v6
	v_rcp_f32_e32 v5, v5
	v_mul_f32_e32 v5, 0x5f7ffffc, v5
	v_mul_f32_e32 v6, 0x2f800000, v5
	v_trunc_f32_e32 v6, v6
	v_mac_f32_e32 v5, 0xcf800000, v6
	v_cvt_u32_f32_e32 v6, v6
	v_cvt_u32_f32_e32 v5, v5
	v_readfirstlane_b32 s13, v6
	v_readfirstlane_b32 s15, v5
	s_mul_i32 s31, s0, s13
	s_mul_hi_u32 s36, s0, s15
	s_mul_i32 s33, s1, s15
	s_add_i32 s31, s36, s31
	s_mul_i32 s37, s0, s15
	s_add_i32 s31, s31, s33
	s_mul_hi_u32 s33, s15, s31
	s_mul_i32 s36, s15, s31
	s_mul_hi_u32 s15, s15, s37
	s_add_u32 s15, s15, s36
	s_addc_u32 s33, 0, s33
	s_mul_hi_u32 s38, s13, s37
	s_mul_i32 s37, s13, s37
	s_add_u32 s15, s15, s37
	s_mul_hi_u32 s36, s13, s31
	s_addc_u32 s15, s33, s38
	s_addc_u32 s33, s36, 0
	s_mul_i32 s31, s13, s31
	s_add_u32 s15, s15, s31
	s_addc_u32 s31, 0, s33
	v_add_co_u32_e32 v5, vcc, s15, v5
	s_cmp_lg_u64 vcc, 0
	s_addc_u32 s13, s13, s31
	v_readfirstlane_b32 s31, v5
	s_mul_i32 s15, s0, s13
	s_mul_hi_u32 s33, s0, s31
	s_add_i32 s15, s33, s15
	s_mul_i32 s1, s1, s31
	s_add_i32 s15, s15, s1
	s_mul_i32 s0, s0, s31
	s_mul_hi_u32 s33, s13, s0
	s_mul_i32 s36, s13, s0
	s_mul_i32 s38, s31, s15
	s_mul_hi_u32 s0, s31, s0
	s_mul_hi_u32 s37, s31, s15
	s_add_u32 s0, s0, s38
	s_addc_u32 s31, 0, s37
	s_add_u32 s0, s0, s36
	s_mul_hi_u32 s1, s13, s15
	s_addc_u32 s0, s31, s33
	s_addc_u32 s1, s1, 0
	s_mul_i32 s15, s13, s15
	s_add_u32 s0, s0, s15
	s_addc_u32 s1, 0, s1
	v_add_co_u32_e32 v5, vcc, s0, v5
	s_cmp_lg_u64 vcc, 0
	s_addc_u32 s0, s13, s1
	v_readfirstlane_b32 s15, v5
	s_mul_i32 s13, s22, s0
	s_mul_hi_u32 s31, s22, s15
	s_mul_hi_u32 s1, s22, s0
	s_add_u32 s13, s31, s13
	s_addc_u32 s1, 0, s1
	s_mul_hi_u32 s33, s23, s15
	s_mul_i32 s15, s23, s15
	s_add_u32 s13, s13, s15
	s_mul_hi_u32 s31, s23, s0
	s_addc_u32 s1, s1, s33
	s_addc_u32 s13, s31, 0
	s_mul_i32 s0, s23, s0
	s_add_u32 s15, s1, s0
	s_addc_u32 s13, 0, s13
	s_mul_i32 s0, s34, s13
	s_mul_hi_u32 s1, s34, s15
	s_add_i32 s0, s1, s0
	s_mul_i32 s1, s35, s15
	s_add_i32 s31, s0, s1
	s_mul_i32 s1, s34, s15
	v_mov_b32_e32 v5, s1
	s_sub_i32 s0, s23, s31
	v_sub_co_u32_e32 v5, vcc, s22, v5
	s_cmp_lg_u64 vcc, 0
	s_subb_u32 s33, s0, s35
	v_subrev_co_u32_e64 v6, s[0:1], s34, v5
	s_cmp_lg_u64 s[0:1], 0
	s_subb_u32 s0, s33, 0
	s_cmp_ge_u32 s0, s35
	v_readfirstlane_b32 s33, v6
	s_cselect_b32 s1, -1, 0
	s_cmp_ge_u32 s33, s34
	s_cselect_b32 s33, -1, 0
	s_cmp_eq_u32 s0, s35
	s_cselect_b32 s0, s33, s1
	s_add_u32 s1, s15, 1
	s_addc_u32 s33, s13, 0
	s_add_u32 s36, s15, 2
	s_addc_u32 s37, s13, 0
	s_cmp_lg_u32 s0, 0
	s_cselect_b32 s0, s36, s1
	s_cselect_b32 s1, s37, s33
	s_cmp_lg_u64 vcc, 0
	s_subb_u32 s31, s23, s31
	s_cmp_ge_u32 s31, s35
	v_readfirstlane_b32 s36, v5
	s_cselect_b32 s33, -1, 0
	s_cmp_ge_u32 s36, s34
	s_cselect_b32 s36, -1, 0
	s_cmp_eq_u32 s31, s35
	s_cselect_b32 s31, s36, s33
	s_cmp_lg_u32 s31, 0
	s_cselect_b32 s1, s1, s13
	s_cselect_b32 s0, s0, s15
	s_cbranch_execnz .LBB0_4
	s_branch .LBB0_8
.LBB0_7:                                ;   in Loop: Header=BB0_5 Depth=1
                                        ; implicit-def: $sgpr0_sgpr1
.LBB0_8:                                ;   in Loop: Header=BB0_5 Depth=1
	v_cvt_f32_u32_e32 v5, s34
	s_sub_i32 s0, 0, s34
	v_rcp_iflag_f32_e32 v5, v5
	v_mul_f32_e32 v5, 0x4f7ffffe, v5
	v_cvt_u32_f32_e32 v5, v5
	v_readfirstlane_b32 s1, v5
	s_mul_i32 s0, s0, s1
	s_mul_hi_u32 s0, s1, s0
	s_add_i32 s1, s1, s0
	s_mul_hi_u32 s0, s22, s1
	s_mul_i32 s13, s0, s34
	s_sub_i32 s13, s22, s13
	s_add_i32 s1, s0, 1
	s_sub_i32 s15, s13, s34
	s_cmp_ge_u32 s13, s34
	s_cselect_b32 s0, s1, s0
	s_cselect_b32 s13, s15, s13
	s_add_i32 s1, s0, 1
	s_cmp_ge_u32 s13, s34
	s_cselect_b32 s0, s1, s0
	s_mov_b32 s1, s30
	s_branch .LBB0_4
.LBB0_9:
	v_mov_b32_e32 v1, s22
	v_mov_b32_e32 v2, s23
	s_branch .LBB0_12
.LBB0_10:
	v_mov_b32_e32 v1, s18
	v_mov_b32_e32 v2, s19
	v_cmp_lt_u64_e32 vcc, s[6:7], v[1:2]
	v_mov_b32_e32 v1, 0
	v_mov_b32_e32 v2, 0
	s_cbranch_vccnz .LBB0_12
; %bb.11:
	v_cvt_f32_u32_e32 v1, s18
	s_sub_i32 s0, 0, s18
	v_rcp_iflag_f32_e32 v1, v1
	v_mul_f32_e32 v1, 0x4f7ffffe, v1
	v_cvt_u32_f32_e32 v1, v1
	v_mul_lo_u32 v2, s0, v1
	v_mul_hi_u32 v2, v1, v2
	v_add_u32_e32 v1, v1, v2
	v_mul_hi_u32 v1, s6, v1
	v_mul_lo_u32 v2, v1, s18
	v_add_u32_e32 v4, 1, v1
	v_sub_u32_e32 v2, s6, v2
	v_subrev_u32_e32 v5, s18, v2
	v_cmp_le_u32_e32 vcc, s18, v2
	v_cndmask_b32_e32 v2, v2, v5, vcc
	v_cndmask_b32_e32 v1, v1, v4, vcc
	v_add_u32_e32 v4, 1, v1
	v_cmp_le_u32_e32 vcc, s18, v2
	v_cndmask_b32_e32 v1, v1, v4, vcc
.LBB0_12:
	s_lshl_b64 s[0:1], s[20:21], 3
	s_add_u32 s0, s2, s0
	s_addc_u32 s1, s3, s1
	s_load_dword s0, s[0:1], 0x0
	v_mov_b32_e32 v4, s10
	v_and_b32_e32 v53, 7, v0
	v_mov_b32_e32 v5, s11
	v_mov_b32_e32 v2, s5
	s_waitcnt lgkmcnt(0)
	v_mul_lo_u32 v1, s0, v1
	s_add_u32 s0, s4, 8
	s_addc_u32 s1, s5, 0
	v_cmp_le_u64_e32 vcc, s[0:1], v[4:5]
	v_mad_u64_u32 v[25:26], s[0:1], s14, v53, 0
	v_add_u32_e32 v3, v1, v3
	s_movk_i32 s0, 0xef
	v_or_b32_e32 v1, s4, v53
	v_lshrrev_b32_e32 v52, 3, v0
	v_cmp_lt_u32_e64 s[2:3], s0, v0
	s_movk_i32 s0, 0xf0
	v_cmp_gt_u64_e64 s[4:5], s[10:11], v[1:2]
	v_mul_lo_u32 v4, s12, v52
	v_cmp_gt_u32_e64 s[0:1], s0, v0
	v_cndmask_b32_e64 v5, 0, 1, s[0:1]
	v_cndmask_b32_e64 v50, 0, 1, s[4:5]
	s_or_b64 s[2:3], s[2:3], vcc
	v_cndmask_b32_e64 v1, v50, v5, s[2:3]
	v_and_b32_e32 v1, 1, v1
	v_add_lshl_u32 v2, v25, v4, 4
	v_cmp_eq_u32_e64 s[2:3], 1, v1
	v_add_u32_e32 v1, 0x78, v52
	v_lshlrev_b32_e32 v51, 4, v3
	v_cndmask_b32_e64 v13, -1, v2, s[2:3]
	v_mul_lo_u32 v1, s12, v1
	v_add_u32_e32 v2, 30, v52
	v_add_u32_e32 v3, 0x96, v52
	v_mul_lo_u32 v2, s12, v2
	v_mul_lo_u32 v3, s12, v3
	v_add_lshl_u32 v1, v25, v1, 4
	v_add_u32_e32 v4, 0xb4, v52
	v_cndmask_b32_e64 v14, -1, v1, s[2:3]
	v_add_lshl_u32 v1, v25, v2, 4
	v_add_lshl_u32 v2, v25, v3, 4
	v_add_u32_e32 v3, 60, v52
	v_mul_lo_u32 v4, s12, v4
	v_mul_lo_u32 v3, s12, v3
	v_cndmask_b32_e64 v16, -1, v2, s[2:3]
	s_mov_b32 s11, 0x20000
	v_add_lshl_u32 v2, v25, v4, 4
	s_mov_b32 s10, -2
	v_readfirstlane_b32 s4, v51
	v_cndmask_b32_e64 v15, -1, v1, s[2:3]
	v_add_lshl_u32 v1, v25, v3, 4
	v_cndmask_b32_e64 v18, -1, v2, s[2:3]
	v_cndmask_b32_e64 v17, -1, v1, s[2:3]
	s_nop 0
	buffer_load_dwordx4 v[1:4], v18, s[8:11], s4 offen
	buffer_load_dwordx4 v[9:12], v13, s[8:11], s4 offen
	;; [unrolled: 1-line block ×3, first 2 shown]
	v_add_u32_e32 v13, 0x5a, v52
	v_add_u32_e32 v15, 0xd2, v52
	v_mul_lo_u32 v13, s12, v13
	v_mul_lo_u32 v15, s12, v15
	buffer_load_dwordx4 v[21:24], v14, s[8:11], s4 offen
	buffer_load_dwordx4 v[26:29], v16, s[8:11], s4 offen
	s_mov_b32 s7, 0x3fe6a09e
	v_add_lshl_u32 v18, v25, v13, 4
	v_add_lshl_u32 v19, v25, v15, 4
	v_cndmask_b32_e64 v34, -1, v18, s[2:3]
	buffer_load_dwordx4 v[13:16], v17, s[8:11], s4 offen
	v_cndmask_b32_e64 v35, -1, v19, s[2:3]
	buffer_load_dwordx4 v[17:20], v34, s[8:11], s4 offen
	buffer_load_dwordx4 v[30:33], v35, s[8:11], s4 offen
	s_mov_b32 s4, 0x667f3bcd
	s_mov_b32 s5, 0xbfe6a09e
	;; [unrolled: 1-line block ×3, first 2 shown]
	v_lshlrev_b32_e32 v53, 4, v53
	s_waitcnt vmcnt(4)
	v_add_f64 v[36:37], v[9:10], -v[21:22]
	v_add_f64 v[44:45], v[11:12], -v[23:24]
	s_waitcnt vmcnt(3)
	v_add_f64 v[46:47], v[5:6], -v[26:27]
	v_add_f64 v[38:39], v[7:8], -v[28:29]
	;; [unrolled: 3-line block ×4, first 2 shown]
	v_add_f64 v[23:24], v[44:45], v[34:35]
	v_add_f64 v[21:22], v[36:37], -v[48:49]
	v_add_f64 v[28:29], v[46:47], -v[42:43]
	v_add_f64 v[30:31], v[38:39], v[40:41]
	v_fma_f64 v[32:33], v[44:45], 2.0, -v[23:24]
	v_fma_f64 v[26:27], v[36:37], 2.0, -v[21:22]
	;; [unrolled: 1-line block ×4, first 2 shown]
	v_fma_f64 v[54:55], v[3:4], s[4:5], v[26:27]
	v_fma_f64 v[56:57], v[1:2], s[4:5], v[32:33]
	;; [unrolled: 1-line block ×4, first 2 shown]
	s_and_saveexec_b64 s[2:3], s[0:1]
	s_cbranch_execz .LBB0_14
; %bb.13:
	v_fma_f64 v[11:12], v[11:12], 2.0, -v[44:45]
	v_fma_f64 v[15:16], v[15:16], 2.0, -v[48:49]
	;; [unrolled: 1-line block ×8, first 2 shown]
	v_add_f64 v[34:35], v[11:12], -v[15:16]
	v_fma_f64 v[15:16], v[30:31], s[6:7], v[23:24]
	v_add_f64 v[19:20], v[7:8], -v[19:20]
	v_add_f64 v[36:37], v[9:10], -v[13:14]
	;; [unrolled: 1-line block ×3, first 2 shown]
	v_fma_f64 v[17:18], v[28:29], s[6:7], v[21:22]
	v_fma_f64 v[38:39], v[11:12], 2.0, -v[34:35]
	v_fma_f64 v[11:12], v[28:29], s[6:7], v[15:16]
	v_fma_f64 v[40:41], v[7:8], 2.0, -v[19:20]
	v_fma_f64 v[42:43], v[9:10], 2.0, -v[36:37]
	;; [unrolled: 1-line block ×3, first 2 shown]
	v_fma_f64 v[9:10], v[30:31], s[4:5], v[17:18]
	v_add_f64 v[15:16], v[34:35], v[13:14]
	v_add_f64 v[13:14], v[36:37], -v[19:20]
	v_fma_f64 v[7:8], v[32:33], 2.0, -v[3:4]
	v_fma_f64 v[23:24], v[23:24], 2.0, -v[11:12]
	v_add_f64 v[19:20], v[38:39], -v[40:41]
	v_lshlrev_b32_e32 v40, 10, v52
	v_add_f64 v[17:18], v[42:43], -v[5:6]
	v_fma_f64 v[5:6], v[26:27], 2.0, -v[1:2]
	v_fma_f64 v[21:22], v[21:22], 2.0, -v[9:10]
	;; [unrolled: 1-line block ×4, first 2 shown]
	v_add3_u32 v34, 0, v40, v53
	v_fma_f64 v[32:33], v[38:39], 2.0, -v[19:20]
	v_fma_f64 v[30:31], v[42:43], 2.0, -v[17:18]
	ds_write_b128 v34, v[1:4] offset:640
	ds_write_b128 v34, v[5:8] offset:128
	;; [unrolled: 1-line block ×6, first 2 shown]
	ds_write_b128 v34, v[30:33]
	ds_write_b128 v34, v[9:12] offset:896
.LBB0_14:
	s_or_b64 exec, exec, s[2:3]
	v_lshlrev_b32_e32 v5, 7, v52
	v_bfe_u32 v45, v0, 3, 3
	v_add3_u32 v26, 0, v5, v53
	v_lshlrev_b32_e32 v43, 6, v45
	s_waitcnt lgkmcnt(0)
	s_barrier
	ds_read_b128 v[13:16], v26
	ds_read_b128 v[5:8], v26 offset:6144
	ds_read_b128 v[9:12], v26 offset:12288
	;; [unrolled: 1-line block ×4, first 2 shown]
	global_load_dwordx4 v[27:30], v43, s[16:17] offset:48
	global_load_dwordx4 v[31:34], v43, s[16:17] offset:32
	;; [unrolled: 1-line block ×3, first 2 shown]
	global_load_dwordx4 v[39:42], v43, s[16:17]
	s_mov_b32 s0, 0x134454ff
	s_mov_b32 s1, 0x3fee6f0e
	;; [unrolled: 1-line block ×10, first 2 shown]
	s_waitcnt vmcnt(0) lgkmcnt(0)
	s_barrier
	v_mul_f64 v[43:44], v[7:8], v[41:42]
	v_fma_f64 v[43:44], v[5:6], v[39:40], -v[43:44]
	v_mul_f64 v[5:6], v[5:6], v[41:42]
	v_fma_f64 v[39:40], v[7:8], v[39:40], v[5:6]
	v_mul_f64 v[5:6], v[11:12], v[37:38]
	v_fma_f64 v[41:42], v[9:10], v[35:36], -v[5:6]
	v_mul_f64 v[5:6], v[9:10], v[37:38]
	v_fma_f64 v[35:36], v[11:12], v[35:36], v[5:6]
	v_mul_f64 v[5:6], v[19:20], v[33:34]
	v_fma_f64 v[11:12], v[17:18], v[31:32], -v[5:6]
	v_mul_f64 v[5:6], v[17:18], v[33:34]
	v_add_f64 v[17:18], v[43:44], -v[41:42]
	v_add_f64 v[7:8], v[41:42], v[11:12]
	v_fma_f64 v[31:32], v[19:20], v[31:32], v[5:6]
	v_mul_f64 v[5:6], v[23:24], v[29:30]
	v_fma_f64 v[7:8], v[7:8], -0.5, v[13:14]
	v_fma_f64 v[19:20], v[21:22], v[27:28], -v[5:6]
	v_mul_f64 v[5:6], v[21:22], v[29:30]
	v_add_f64 v[29:30], v[19:20], -v[11:12]
	v_fma_f64 v[23:24], v[23:24], v[27:28], v[5:6]
	v_add_f64 v[27:28], v[35:36], -v[31:32]
	v_add_f64 v[5:6], v[13:14], v[43:44]
	v_add_f64 v[33:34], v[11:12], -v[19:20]
	v_add_f64 v[17:18], v[17:18], v[29:30]
	v_add_f64 v[21:22], v[39:40], -v[23:24]
	v_add_f64 v[29:30], v[41:42], -v[43:44]
	v_add_f64 v[5:6], v[5:6], v[41:42]
	v_add_f64 v[37:38], v[23:24], -v[31:32]
	v_fma_f64 v[9:10], v[21:22], s[0:1], v[7:8]
	v_fma_f64 v[7:8], v[21:22], s[6:7], v[7:8]
	v_add_f64 v[29:30], v[29:30], v[33:34]
	v_add_f64 v[5:6], v[5:6], v[11:12]
	v_add_f64 v[33:34], v[41:42], -v[11:12]
	v_fma_f64 v[9:10], v[27:28], s[2:3], v[9:10]
	v_fma_f64 v[7:8], v[27:28], s[10:11], v[7:8]
	v_add_f64 v[5:6], v[5:6], v[19:20]
	v_fma_f64 v[9:10], v[17:18], s[4:5], v[9:10]
	v_fma_f64 v[17:18], v[17:18], s[4:5], v[7:8]
	v_add_f64 v[7:8], v[43:44], v[19:20]
	v_fma_f64 v[7:8], v[7:8], -0.5, v[13:14]
	v_fma_f64 v[13:14], v[27:28], s[6:7], v[7:8]
	v_fma_f64 v[7:8], v[27:28], s[0:1], v[7:8]
	v_add_f64 v[27:28], v[35:36], v[31:32]
	v_fma_f64 v[13:14], v[21:22], s[2:3], v[13:14]
	v_fma_f64 v[7:8], v[21:22], s[10:11], v[7:8]
	v_fma_f64 v[27:28], v[27:28], -0.5, v[15:16]
	v_fma_f64 v[13:14], v[29:30], s[4:5], v[13:14]
	v_fma_f64 v[21:22], v[29:30], s[4:5], v[7:8]
	v_add_f64 v[29:30], v[43:44], -v[19:20]
	v_add_f64 v[7:8], v[15:16], v[39:40]
	v_fma_f64 v[19:20], v[29:30], s[6:7], v[27:28]
	v_fma_f64 v[27:28], v[29:30], s[0:1], v[27:28]
	v_add_f64 v[7:8], v[7:8], v[35:36]
	v_fma_f64 v[11:12], v[33:34], s[10:11], v[19:20]
	v_add_f64 v[19:20], v[39:40], -v[35:36]
	v_fma_f64 v[27:28], v[33:34], s[2:3], v[27:28]
	v_add_f64 v[7:8], v[7:8], v[31:32]
	v_add_f64 v[35:36], v[35:36], -v[39:40]
	v_add_f64 v[19:20], v[19:20], v[37:38]
	v_add_f64 v[7:8], v[7:8], v[23:24]
	v_fma_f64 v[11:12], v[19:20], s[4:5], v[11:12]
	v_fma_f64 v[19:20], v[19:20], s[4:5], v[27:28]
	v_add_f64 v[27:28], v[39:40], v[23:24]
	v_add_f64 v[23:24], v[31:32], -v[23:24]
	v_fma_f64 v[27:28], v[27:28], -0.5, v[15:16]
	v_add_f64 v[23:24], v[35:36], v[23:24]
	v_fma_f64 v[15:16], v[33:34], s[0:1], v[27:28]
	v_fma_f64 v[27:28], v[33:34], s[6:7], v[27:28]
	;; [unrolled: 1-line block ×6, first 2 shown]
	v_lshrrev_b32_e32 v27, 6, v0
	v_mul_u32_u24_e32 v27, 40, v27
	v_or_b32_e32 v27, v27, v45
	v_lshlrev_b32_e32 v27, 7, v27
	s_movk_i32 s4, 0x140
	v_add3_u32 v27, 0, v27, v53
	v_cmp_gt_u32_e64 s[0:1], s4, v0
	ds_write_b128 v27, v[5:8]
	ds_write_b128 v27, v[9:12] offset:1024
	ds_write_b128 v27, v[13:16] offset:2048
	;; [unrolled: 1-line block ×4, first 2 shown]
	s_waitcnt lgkmcnt(0)
	s_barrier
	s_and_saveexec_b64 s[2:3], s[0:1]
	s_cbranch_execz .LBB0_16
; %bb.15:
	ds_read_b128 v[5:8], v26
	ds_read_b128 v[9:12], v26 offset:5120
	ds_read_b128 v[13:16], v26 offset:10240
	;; [unrolled: 1-line block ×5, first 2 shown]
.LBB0_16:
	s_or_b64 exec, exec, s[2:3]
	v_mul_lo_u16_e32 v26, 13, v52
	v_lshrrev_b16_e32 v26, 9, v26
	v_mul_lo_u16_e32 v26, 40, v26
	v_sub_u16_e32 v46, v52, v26
	v_mov_b32_e32 v26, 5
	v_mul_u32_u24_sdwa v26, v46, v26 dst_sel:DWORD dst_unused:UNUSED_PAD src0_sel:BYTE_0 src1_sel:DWORD
	v_lshlrev_b32_e32 v47, 4, v26
	global_load_dwordx4 v[26:29], v47, s[16:17] offset:544
	global_load_dwordx4 v[30:33], v47, s[16:17] offset:512
	;; [unrolled: 1-line block ×5, first 2 shown]
	v_mul_u32_u24_e32 v47, 0xcd, v0
	s_movk_i32 s6, 0xf0
	s_movk_i32 s7, 0x13f
	v_cmp_gt_u32_e64 s[0:1], s4, v0
	v_cndmask_b32_e64 v48, 0, 1, s[0:1]
	v_mul_lo_u16_sdwa v47, v47, s6 dst_sel:DWORD dst_unused:UNUSED_PAD src0_sel:WORD_1 src1_sel:DWORD
	v_cmp_lt_u32_e64 s[0:1], s7, v0
	s_or_b64 vcc, s[0:1], vcc
	v_add_u32_sdwa v46, v47, v46 dst_sel:DWORD dst_unused:UNUSED_PAD src0_sel:DWORD src1_sel:BYTE_0
	v_readfirstlane_b32 s13, v51
	v_cndmask_b32_e32 v0, v50, v48, vcc
	v_mul_lo_u32 v47, s12, v46
	v_add_u32_e32 v50, 0x78, v46
	v_add_u32_e32 v51, 0xa0, v46
	v_mul_lo_u32 v50, s12, v50
	v_mul_lo_u32 v51, s12, v51
	v_and_b32_e32 v0, 1, v0
	v_add_u32_e32 v48, 40, v46
	v_add_u32_e32 v49, 0x50, v46
	;; [unrolled: 1-line block ×3, first 2 shown]
	v_mul_lo_u32 v52, s12, v46
	v_add_lshl_u32 v46, v25, v47, 4
	v_cmp_eq_u32_e32 vcc, 1, v0
	v_cndmask_b32_e32 v53, -1, v46, vcc
	v_add_lshl_u32 v55, v25, v50, 4
	v_add_lshl_u32 v56, v25, v51, 4
	v_mul_lo_u32 v48, s12, v48
	v_mul_lo_u32 v49, s12, v49
	v_add_lshl_u32 v52, v25, v52, 4
	s_mov_b32 s2, 0xe8584caa
	v_add_lshl_u32 v0, v25, v48, 4
	v_add_lshl_u32 v54, v25, v49, 4
	v_cndmask_b32_e32 v57, -1, v0, vcc
	s_mov_b32 s3, 0x3febb67a
	s_mov_b32 s5, 0xbfebb67a
	;; [unrolled: 1-line block ×4, first 2 shown]
	s_mov_b32 s10, -2
	s_waitcnt vmcnt(4) lgkmcnt(2)
	v_mul_f64 v[46:47], v[23:24], v[28:29]
	v_mul_f64 v[28:29], v[21:22], v[28:29]
	s_waitcnt vmcnt(2) lgkmcnt(0)
	v_mul_f64 v[50:51], v[3:4], v[36:37]
	v_mul_f64 v[36:37], v[1:2], v[36:37]
	;; [unrolled: 1-line block ×4, first 2 shown]
	v_fma_f64 v[21:22], v[21:22], v[26:27], -v[46:47]
	v_fma_f64 v[23:24], v[23:24], v[26:27], v[28:29]
	s_waitcnt vmcnt(1)
	v_mul_f64 v[25:26], v[15:16], v[40:41]
	v_mul_f64 v[27:28], v[13:14], v[40:41]
	v_fma_f64 v[0:1], v[1:2], v[34:35], -v[50:51]
	v_fma_f64 v[2:3], v[3:4], v[34:35], v[36:37]
	s_waitcnt vmcnt(0)
	v_mul_f64 v[40:41], v[19:20], v[44:45]
	v_mul_f64 v[44:45], v[17:18], v[44:45]
	v_fma_f64 v[9:10], v[9:10], v[30:31], -v[48:49]
	v_fma_f64 v[11:12], v[11:12], v[30:31], v[32:33]
	v_fma_f64 v[13:14], v[13:14], v[38:39], -v[25:26]
	v_fma_f64 v[15:16], v[15:16], v[38:39], v[27:28]
	v_add_f64 v[27:28], v[21:22], v[0:1]
	v_add_f64 v[25:26], v[23:24], v[2:3]
	v_fma_f64 v[17:18], v[17:18], v[42:43], -v[40:41]
	v_fma_f64 v[19:20], v[19:20], v[42:43], v[44:45]
	v_add_f64 v[37:38], v[23:24], -v[2:3]
	v_add_f64 v[39:40], v[21:22], -v[0:1]
	v_add_f64 v[29:30], v[5:6], v[13:14]
	v_add_f64 v[35:36], v[7:8], v[15:16]
	v_fma_f64 v[27:28], v[27:28], -0.5, v[9:10]
	v_fma_f64 v[25:26], v[25:26], -0.5, v[11:12]
	v_add_f64 v[31:32], v[13:14], v[17:18]
	v_add_f64 v[33:34], v[15:16], -v[19:20]
	v_add_f64 v[15:16], v[15:16], v[19:20]
	v_add_f64 v[9:10], v[9:10], v[21:22]
	;; [unrolled: 1-line block ×3, first 2 shown]
	v_add_f64 v[13:14], v[13:14], -v[17:18]
	v_fma_f64 v[23:24], v[37:38], s[4:5], v[27:28]
	v_fma_f64 v[21:22], v[39:40], s[4:5], v[25:26]
	;; [unrolled: 1-line block ×4, first 2 shown]
	v_fma_f64 v[4:5], v[31:32], -0.5, v[5:6]
	v_fma_f64 v[6:7], v[15:16], -0.5, v[7:8]
	v_add_f64 v[8:9], v[9:10], v[0:1]
	v_add_f64 v[17:18], v[29:30], v[17:18]
	;; [unrolled: 1-line block ×3, first 2 shown]
	v_mul_f64 v[0:1], v[21:22], s[2:3]
	v_mul_f64 v[15:16], v[27:28], s[4:5]
	v_mul_f64 v[2:3], v[23:24], -0.5
	v_mul_f64 v[29:30], v[25:26], -0.5
	v_add_f64 v[19:20], v[35:36], v[19:20]
	v_fma_f64 v[31:32], v[33:34], s[2:3], v[4:5]
	v_fma_f64 v[35:36], v[13:14], s[4:5], v[6:7]
	;; [unrolled: 1-line block ×3, first 2 shown]
	v_fma_f64 v[27:28], v[27:28], 0.5, v[0:1]
	v_fma_f64 v[39:40], v[21:22], 0.5, v[15:16]
	v_fma_f64 v[37:38], v[13:14], s[2:3], v[6:7]
	v_fma_f64 v[25:26], v[25:26], s[2:3], v[2:3]
	;; [unrolled: 1-line block ×3, first 2 shown]
	v_add_f64 v[0:1], v[17:18], v[8:9]
	v_add_f64 v[2:3], v[19:20], v[10:11]
	v_add_f64 v[4:5], v[17:18], -v[8:9]
	v_add_f64 v[6:7], v[19:20], -v[10:11]
	v_add_f64 v[8:9], v[31:32], v[27:28]
	v_add_f64 v[10:11], v[35:36], v[39:40]
	;; [unrolled: 1-line block ×4, first 2 shown]
	v_add_f64 v[16:17], v[31:32], -v[27:28]
	v_add_f64 v[18:19], v[35:36], -v[39:40]
	;; [unrolled: 1-line block ×4, first 2 shown]
	v_cndmask_b32_e32 v46, -1, v54, vcc
	v_cndmask_b32_e32 v41, -1, v55, vcc
	;; [unrolled: 1-line block ×4, first 2 shown]
	buffer_store_dwordx4 v[0:3], v53, s[8:11], s13 offen
	buffer_store_dwordx4 v[8:11], v57, s[8:11], s13 offen
	;; [unrolled: 1-line block ×6, first 2 shown]
	s_endpgm
	.section	.rodata,"a",@progbits
	.p2align	6, 0x0
	.amdhsa_kernel fft_rtc_fwd_len240_factors_8_5_6_wgs_384_tpt_48_dp_ip_CI_sbcc_dirReg_intrinsicReadWrite
		.amdhsa_group_segment_fixed_size 0
		.amdhsa_private_segment_fixed_size 0
		.amdhsa_kernarg_size 96
		.amdhsa_user_sgpr_count 6
		.amdhsa_user_sgpr_private_segment_buffer 1
		.amdhsa_user_sgpr_dispatch_ptr 0
		.amdhsa_user_sgpr_queue_ptr 0
		.amdhsa_user_sgpr_kernarg_segment_ptr 1
		.amdhsa_user_sgpr_dispatch_id 0
		.amdhsa_user_sgpr_flat_scratch_init 0
		.amdhsa_user_sgpr_private_segment_size 0
		.amdhsa_uses_dynamic_stack 0
		.amdhsa_system_sgpr_private_segment_wavefront_offset 0
		.amdhsa_system_sgpr_workgroup_id_x 1
		.amdhsa_system_sgpr_workgroup_id_y 0
		.amdhsa_system_sgpr_workgroup_id_z 0
		.amdhsa_system_sgpr_workgroup_info 0
		.amdhsa_system_vgpr_workitem_id 0
		.amdhsa_next_free_vgpr 58
		.amdhsa_next_free_sgpr 39
		.amdhsa_reserve_vcc 1
		.amdhsa_reserve_flat_scratch 0
		.amdhsa_float_round_mode_32 0
		.amdhsa_float_round_mode_16_64 0
		.amdhsa_float_denorm_mode_32 3
		.amdhsa_float_denorm_mode_16_64 3
		.amdhsa_dx10_clamp 1
		.amdhsa_ieee_mode 1
		.amdhsa_fp16_overflow 0
		.amdhsa_exception_fp_ieee_invalid_op 0
		.amdhsa_exception_fp_denorm_src 0
		.amdhsa_exception_fp_ieee_div_zero 0
		.amdhsa_exception_fp_ieee_overflow 0
		.amdhsa_exception_fp_ieee_underflow 0
		.amdhsa_exception_fp_ieee_inexact 0
		.amdhsa_exception_int_div_zero 0
	.end_amdhsa_kernel
	.text
.Lfunc_end0:
	.size	fft_rtc_fwd_len240_factors_8_5_6_wgs_384_tpt_48_dp_ip_CI_sbcc_dirReg_intrinsicReadWrite, .Lfunc_end0-fft_rtc_fwd_len240_factors_8_5_6_wgs_384_tpt_48_dp_ip_CI_sbcc_dirReg_intrinsicReadWrite
                                        ; -- End function
	.section	.AMDGPU.csdata,"",@progbits
; Kernel info:
; codeLenInByte = 4092
; NumSgprs: 43
; NumVgprs: 58
; ScratchSize: 0
; MemoryBound: 0
; FloatMode: 240
; IeeeMode: 1
; LDSByteSize: 0 bytes/workgroup (compile time only)
; SGPRBlocks: 5
; VGPRBlocks: 14
; NumSGPRsForWavesPerEU: 43
; NumVGPRsForWavesPerEU: 58
; Occupancy: 4
; WaveLimiterHint : 0
; COMPUTE_PGM_RSRC2:SCRATCH_EN: 0
; COMPUTE_PGM_RSRC2:USER_SGPR: 6
; COMPUTE_PGM_RSRC2:TRAP_HANDLER: 0
; COMPUTE_PGM_RSRC2:TGID_X_EN: 1
; COMPUTE_PGM_RSRC2:TGID_Y_EN: 0
; COMPUTE_PGM_RSRC2:TGID_Z_EN: 0
; COMPUTE_PGM_RSRC2:TIDIG_COMP_CNT: 0
	.type	__hip_cuid_c8a90add075aff30,@object ; @__hip_cuid_c8a90add075aff30
	.section	.bss,"aw",@nobits
	.globl	__hip_cuid_c8a90add075aff30
__hip_cuid_c8a90add075aff30:
	.byte	0                               ; 0x0
	.size	__hip_cuid_c8a90add075aff30, 1

	.ident	"AMD clang version 19.0.0git (https://github.com/RadeonOpenCompute/llvm-project roc-6.4.0 25133 c7fe45cf4b819c5991fe208aaa96edf142730f1d)"
	.section	".note.GNU-stack","",@progbits
	.addrsig
	.addrsig_sym __hip_cuid_c8a90add075aff30
	.amdgpu_metadata
---
amdhsa.kernels:
  - .args:
      - .actual_access:  read_only
        .address_space:  global
        .offset:         0
        .size:           8
        .value_kind:     global_buffer
      - .address_space:  global
        .offset:         8
        .size:           8
        .value_kind:     global_buffer
      - .offset:         16
        .size:           8
        .value_kind:     by_value
      - .actual_access:  read_only
        .address_space:  global
        .offset:         24
        .size:           8
        .value_kind:     global_buffer
      - .actual_access:  read_only
        .address_space:  global
        .offset:         32
        .size:           8
        .value_kind:     global_buffer
      - .offset:         40
        .size:           8
        .value_kind:     by_value
      - .actual_access:  read_only
        .address_space:  global
        .offset:         48
        .size:           8
        .value_kind:     global_buffer
      - .actual_access:  read_only
        .address_space:  global
        .offset:         56
        .size:           8
        .value_kind:     global_buffer
      - .offset:         64
        .size:           4
        .value_kind:     by_value
      - .actual_access:  read_only
        .address_space:  global
        .offset:         72
        .size:           8
        .value_kind:     global_buffer
      - .actual_access:  read_only
        .address_space:  global
        .offset:         80
        .size:           8
        .value_kind:     global_buffer
      - .address_space:  global
        .offset:         88
        .size:           8
        .value_kind:     global_buffer
    .group_segment_fixed_size: 0
    .kernarg_segment_align: 8
    .kernarg_segment_size: 96
    .language:       OpenCL C
    .language_version:
      - 2
      - 0
    .max_flat_workgroup_size: 384
    .name:           fft_rtc_fwd_len240_factors_8_5_6_wgs_384_tpt_48_dp_ip_CI_sbcc_dirReg_intrinsicReadWrite
    .private_segment_fixed_size: 0
    .sgpr_count:     43
    .sgpr_spill_count: 0
    .symbol:         fft_rtc_fwd_len240_factors_8_5_6_wgs_384_tpt_48_dp_ip_CI_sbcc_dirReg_intrinsicReadWrite.kd
    .uniform_work_group_size: 1
    .uses_dynamic_stack: false
    .vgpr_count:     58
    .vgpr_spill_count: 0
    .wavefront_size: 64
amdhsa.target:   amdgcn-amd-amdhsa--gfx906
amdhsa.version:
  - 1
  - 2
...

	.end_amdgpu_metadata
